;; amdgpu-corpus repo=ROCm/rocFFT kind=compiled arch=gfx950 opt=O3
	.text
	.amdgcn_target "amdgcn-amd-amdhsa--gfx950"
	.amdhsa_code_object_version 6
	.protected	fft_rtc_fwd_len1100_factors_2_2_11_5_5_wgs_110_tpt_110_sp_op_CI_CI_sbrr_dirReg ; -- Begin function fft_rtc_fwd_len1100_factors_2_2_11_5_5_wgs_110_tpt_110_sp_op_CI_CI_sbrr_dirReg
	.globl	fft_rtc_fwd_len1100_factors_2_2_11_5_5_wgs_110_tpt_110_sp_op_CI_CI_sbrr_dirReg
	.p2align	8
	.type	fft_rtc_fwd_len1100_factors_2_2_11_5_5_wgs_110_tpt_110_sp_op_CI_CI_sbrr_dirReg,@function
fft_rtc_fwd_len1100_factors_2_2_11_5_5_wgs_110_tpt_110_sp_op_CI_CI_sbrr_dirReg: ; @fft_rtc_fwd_len1100_factors_2_2_11_5_5_wgs_110_tpt_110_sp_op_CI_CI_sbrr_dirReg
; %bb.0:
	s_load_dwordx4 s[12:15], s[0:1], 0x18
	s_load_dwordx4 s[8:11], s[0:1], 0x0
	;; [unrolled: 1-line block ×3, first 2 shown]
	v_mul_u32_u24_e32 v1, 0x254, v0
	v_add_u32_sdwa v6, s2, v1 dst_sel:DWORD dst_unused:UNUSED_PAD src0_sel:DWORD src1_sel:WORD_1
	s_waitcnt lgkmcnt(0)
	s_load_dwordx2 s[18:19], s[12:13], 0x0
	s_load_dwordx2 s[16:17], s[14:15], 0x0
	v_mov_b32_e32 v4, 0
	v_cmp_lt_u64_e64 s[2:3], s[10:11], 2
	v_mov_b32_e32 v7, v4
	s_and_b64 vcc, exec, s[2:3]
	v_mov_b64_e32 v[2:3], 0
	s_cbranch_vccnz .LBB0_8
; %bb.1:
	s_load_dwordx2 s[2:3], s[0:1], 0x10
	s_add_u32 s20, s14, 8
	s_addc_u32 s21, s15, 0
	s_add_u32 s22, s12, 8
	s_addc_u32 s23, s13, 0
	s_waitcnt lgkmcnt(0)
	s_add_u32 s24, s2, 8
	v_mov_b64_e32 v[2:3], 0
	s_addc_u32 s25, s3, 0
	s_mov_b64 s[26:27], 1
	v_mov_b64_e32 v[20:21], v[2:3]
.LBB0_2:                                ; =>This Inner Loop Header: Depth=1
	s_load_dwordx2 s[28:29], s[24:25], 0x0
                                        ; implicit-def: $vgpr22_vgpr23
	s_waitcnt lgkmcnt(0)
	v_or_b32_e32 v5, s29, v7
	v_cmp_ne_u64_e32 vcc, 0, v[4:5]
	s_and_saveexec_b64 s[2:3], vcc
	s_xor_b64 s[30:31], exec, s[2:3]
	s_cbranch_execz .LBB0_4
; %bb.3:                                ;   in Loop: Header=BB0_2 Depth=1
	v_cvt_f32_u32_e32 v1, s28
	v_cvt_f32_u32_e32 v5, s29
	s_sub_u32 s2, 0, s28
	s_subb_u32 s3, 0, s29
	v_fmac_f32_e32 v1, 0x4f800000, v5
	v_rcp_f32_e32 v1, v1
	s_nop 0
	v_mul_f32_e32 v1, 0x5f7ffffc, v1
	v_mul_f32_e32 v5, 0x2f800000, v1
	v_trunc_f32_e32 v5, v5
	v_fmac_f32_e32 v1, 0xcf800000, v5
	v_cvt_u32_f32_e32 v5, v5
	v_cvt_u32_f32_e32 v1, v1
	v_mul_lo_u32 v8, s2, v5
	v_mul_hi_u32 v10, s2, v1
	v_mul_lo_u32 v9, s3, v1
	v_add_u32_e32 v10, v10, v8
	v_mul_lo_u32 v12, s2, v1
	v_add_u32_e32 v13, v10, v9
	v_mul_hi_u32 v8, v1, v12
	v_mul_hi_u32 v11, v1, v13
	v_mul_lo_u32 v10, v1, v13
	v_mov_b32_e32 v9, v4
	v_lshl_add_u64 v[8:9], v[8:9], 0, v[10:11]
	v_mul_hi_u32 v11, v5, v12
	v_mul_lo_u32 v12, v5, v12
	v_add_co_u32_e32 v8, vcc, v8, v12
	v_mul_hi_u32 v10, v5, v13
	s_nop 0
	v_addc_co_u32_e32 v8, vcc, v9, v11, vcc
	v_mov_b32_e32 v9, v4
	s_nop 0
	v_addc_co_u32_e32 v11, vcc, 0, v10, vcc
	v_mul_lo_u32 v10, v5, v13
	v_lshl_add_u64 v[8:9], v[8:9], 0, v[10:11]
	v_add_co_u32_e32 v1, vcc, v1, v8
	v_mul_lo_u32 v10, s2, v1
	s_nop 0
	v_addc_co_u32_e32 v5, vcc, v5, v9, vcc
	v_mul_lo_u32 v8, s2, v5
	v_mul_hi_u32 v9, s2, v1
	v_add_u32_e32 v8, v9, v8
	v_mul_lo_u32 v9, s3, v1
	v_add_u32_e32 v12, v8, v9
	v_mul_hi_u32 v14, v5, v10
	v_mul_lo_u32 v15, v5, v10
	v_mul_hi_u32 v9, v1, v12
	v_mul_lo_u32 v8, v1, v12
	v_mul_hi_u32 v10, v1, v10
	v_mov_b32_e32 v11, v4
	v_lshl_add_u64 v[8:9], v[10:11], 0, v[8:9]
	v_add_co_u32_e32 v8, vcc, v8, v15
	v_mul_hi_u32 v13, v5, v12
	s_nop 0
	v_addc_co_u32_e32 v8, vcc, v9, v14, vcc
	v_mul_lo_u32 v10, v5, v12
	s_nop 0
	v_addc_co_u32_e32 v11, vcc, 0, v13, vcc
	v_mov_b32_e32 v9, v4
	v_lshl_add_u64 v[8:9], v[8:9], 0, v[10:11]
	v_add_co_u32_e32 v1, vcc, v1, v8
	v_mul_hi_u32 v10, v6, v1
	s_nop 0
	v_addc_co_u32_e32 v5, vcc, v5, v9, vcc
	v_mad_u64_u32 v[8:9], s[2:3], v6, v5, 0
	v_mov_b32_e32 v11, v4
	v_lshl_add_u64 v[8:9], v[10:11], 0, v[8:9]
	v_mad_u64_u32 v[12:13], s[2:3], v7, v1, 0
	v_add_co_u32_e32 v1, vcc, v8, v12
	v_mad_u64_u32 v[10:11], s[2:3], v7, v5, 0
	s_nop 0
	v_addc_co_u32_e32 v8, vcc, v9, v13, vcc
	v_mov_b32_e32 v9, v4
	s_nop 0
	v_addc_co_u32_e32 v11, vcc, 0, v11, vcc
	v_lshl_add_u64 v[8:9], v[8:9], 0, v[10:11]
	v_mul_lo_u32 v1, s29, v8
	v_mul_lo_u32 v5, s28, v9
	v_mad_u64_u32 v[10:11], s[2:3], s28, v8, 0
	v_add3_u32 v1, v11, v5, v1
	v_sub_u32_e32 v5, v7, v1
	v_mov_b32_e32 v11, s29
	v_sub_co_u32_e32 v14, vcc, v6, v10
	v_lshl_add_u64 v[12:13], v[8:9], 0, 1
	s_nop 0
	v_subb_co_u32_e64 v5, s[2:3], v5, v11, vcc
	v_subrev_co_u32_e64 v10, s[2:3], s28, v14
	v_subb_co_u32_e32 v1, vcc, v7, v1, vcc
	s_nop 0
	v_subbrev_co_u32_e64 v5, s[2:3], 0, v5, s[2:3]
	v_cmp_le_u32_e64 s[2:3], s29, v5
	v_cmp_le_u32_e32 vcc, s29, v1
	s_nop 0
	v_cndmask_b32_e64 v11, 0, -1, s[2:3]
	v_cmp_le_u32_e64 s[2:3], s28, v10
	s_nop 1
	v_cndmask_b32_e64 v10, 0, -1, s[2:3]
	v_cmp_eq_u32_e64 s[2:3], s29, v5
	s_nop 1
	v_cndmask_b32_e64 v5, v11, v10, s[2:3]
	v_lshl_add_u64 v[10:11], v[8:9], 0, 2
	v_cmp_ne_u32_e64 s[2:3], 0, v5
	s_nop 1
	v_cndmask_b32_e64 v5, v13, v11, s[2:3]
	v_cndmask_b32_e64 v11, 0, -1, vcc
	v_cmp_le_u32_e32 vcc, s28, v14
	s_nop 1
	v_cndmask_b32_e64 v13, 0, -1, vcc
	v_cmp_eq_u32_e32 vcc, s29, v1
	s_nop 1
	v_cndmask_b32_e32 v1, v11, v13, vcc
	v_cmp_ne_u32_e32 vcc, 0, v1
	v_cndmask_b32_e64 v1, v12, v10, s[2:3]
	s_nop 0
	v_cndmask_b32_e32 v23, v9, v5, vcc
	v_cndmask_b32_e32 v22, v8, v1, vcc
.LBB0_4:                                ;   in Loop: Header=BB0_2 Depth=1
	s_andn2_saveexec_b64 s[2:3], s[30:31]
	s_cbranch_execz .LBB0_6
; %bb.5:                                ;   in Loop: Header=BB0_2 Depth=1
	v_cvt_f32_u32_e32 v1, s28
	s_sub_i32 s30, 0, s28
	v_mov_b32_e32 v23, v4
	v_rcp_iflag_f32_e32 v1, v1
	s_nop 0
	v_mul_f32_e32 v1, 0x4f7ffffe, v1
	v_cvt_u32_f32_e32 v1, v1
	v_mul_lo_u32 v5, s30, v1
	v_mul_hi_u32 v5, v1, v5
	v_add_u32_e32 v1, v1, v5
	v_mul_hi_u32 v1, v6, v1
	v_mul_lo_u32 v5, v1, s28
	v_sub_u32_e32 v5, v6, v5
	v_add_u32_e32 v8, 1, v1
	v_subrev_u32_e32 v9, s28, v5
	v_cmp_le_u32_e32 vcc, s28, v5
	s_nop 1
	v_cndmask_b32_e32 v5, v5, v9, vcc
	v_cndmask_b32_e32 v1, v1, v8, vcc
	v_add_u32_e32 v8, 1, v1
	v_cmp_le_u32_e32 vcc, s28, v5
	s_nop 1
	v_cndmask_b32_e32 v22, v1, v8, vcc
.LBB0_6:                                ;   in Loop: Header=BB0_2 Depth=1
	s_or_b64 exec, exec, s[2:3]
	v_mad_u64_u32 v[8:9], s[2:3], v22, s28, 0
	s_load_dwordx2 s[2:3], s[22:23], 0x0
	v_mul_lo_u32 v1, v23, s28
	v_mul_lo_u32 v5, v22, s29
	s_load_dwordx2 s[28:29], s[20:21], 0x0
	s_add_u32 s26, s26, 1
	v_add3_u32 v1, v9, v5, v1
	v_sub_co_u32_e32 v5, vcc, v6, v8
	s_addc_u32 s27, s27, 0
	s_nop 0
	v_subb_co_u32_e32 v1, vcc, v7, v1, vcc
	s_add_u32 s20, s20, 8
	s_waitcnt lgkmcnt(0)
	v_mul_lo_u32 v6, s2, v1
	v_mul_lo_u32 v7, s3, v5
	v_mad_u64_u32 v[2:3], s[2:3], s2, v5, v[2:3]
	s_addc_u32 s21, s21, 0
	v_add3_u32 v3, v7, v3, v6
	v_mul_lo_u32 v1, s28, v1
	v_mul_lo_u32 v6, s29, v5
	v_mad_u64_u32 v[20:21], s[2:3], s28, v5, v[20:21]
	s_add_u32 s22, s22, 8
	v_add3_u32 v21, v6, v21, v1
	s_addc_u32 s23, s23, 0
	v_mov_b64_e32 v[6:7], s[10:11]
	s_add_u32 s24, s24, 8
	v_cmp_ge_u64_e32 vcc, s[26:27], v[6:7]
	s_addc_u32 s25, s25, 0
	s_cbranch_vccnz .LBB0_9
; %bb.7:                                ;   in Loop: Header=BB0_2 Depth=1
	v_mov_b64_e32 v[6:7], v[22:23]
	s_branch .LBB0_2
.LBB0_8:
	v_mov_b64_e32 v[20:21], v[2:3]
	v_mov_b64_e32 v[22:23], v[6:7]
.LBB0_9:
	s_load_dwordx2 s[0:1], s[0:1], 0x28
	s_lshl_b64 s[10:11], s[10:11], 3
	s_add_u32 s2, s14, s10
	s_addc_u32 s3, s15, s11
                                        ; implicit-def: $sgpr14_sgpr15
                                        ; implicit-def: $vgpr36
                                        ; implicit-def: $vgpr37
                                        ; implicit-def: $vgpr1
                                        ; implicit-def: $vgpr28
                                        ; implicit-def: $vgpr29
	s_waitcnt lgkmcnt(0)
	v_cmp_gt_u64_e32 vcc, s[0:1], v[22:23]
	v_cmp_le_u64_e64 s[0:1], s[0:1], v[22:23]
	s_and_saveexec_b64 s[20:21], s[0:1]
	s_xor_b64 s[0:1], exec, s[20:21]
; %bb.10:
	s_mov_b32 s14, 0x253c826
	v_mul_hi_u32 v1, v0, s14
	v_mul_u32_u24_e32 v1, 0x6e, v1
	v_sub_u32_e32 v36, v0, v1
	v_add_u32_e32 v37, 0x6e, v36
	v_add_u32_e32 v1, 0xdc, v36
	;; [unrolled: 1-line block ×4, first 2 shown]
	s_mov_b64 s[14:15], 0
                                        ; implicit-def: $vgpr0
                                        ; implicit-def: $vgpr2_vgpr3
; %bb.11:
	s_or_saveexec_b64 s[0:1], s[0:1]
	v_mov_b64_e32 v[6:7], s[14:15]
	v_mov_b64_e32 v[4:5], s[14:15]
	;; [unrolled: 1-line block ×5, first 2 shown]
                                        ; implicit-def: $vgpr24
                                        ; implicit-def: $vgpr14
                                        ; implicit-def: $vgpr26
                                        ; implicit-def: $vgpr10
                                        ; implicit-def: $vgpr16
	s_xor_b64 exec, exec, s[0:1]
	s_cbranch_execz .LBB0_13
; %bb.12:
	s_add_u32 s10, s12, s10
	s_addc_u32 s11, s13, s11
	s_load_dwordx2 s[10:11], s[10:11], 0x0
	s_mov_b32 s12, 0x253c826
	s_waitcnt lgkmcnt(0)
	v_mul_lo_u32 v1, s11, v22
	v_mul_lo_u32 v6, s10, v23
	v_mad_u64_u32 v[4:5], s[10:11], s10, v22, 0
	v_add3_u32 v5, v5, v6, v1
	v_mul_hi_u32 v1, v0, s12
	v_mul_u32_u24_e32 v1, 0x6e, v1
	v_sub_u32_e32 v36, v0, v1
	v_mad_u64_u32 v[0:1], s[10:11], s18, v36, 0
	v_mov_b32_e32 v6, v1
	v_mad_u64_u32 v[6:7], s[10:11], s19, v36, v[6:7]
	v_lshl_add_u64 v[4:5], v[4:5], 3, s[4:5]
	v_add_u32_e32 v7, 0x226, v36
	v_lshl_add_u64 v[2:3], v[2:3], 3, v[4:5]
	v_mad_u64_u32 v[4:5], s[4:5], s18, v7, 0
	v_mov_b32_e32 v1, v6
	v_mov_b32_e32 v6, v5
	v_mad_u64_u32 v[6:7], s[4:5], s19, v7, v[6:7]
	v_mov_b32_e32 v5, v6
	v_add_u32_e32 v37, 0x6e, v36
	v_lshl_add_u64 v[8:9], v[4:5], 3, v[2:3]
	v_mad_u64_u32 v[4:5], s[4:5], s18, v37, 0
	v_mov_b32_e32 v6, v5
	v_mad_u64_u32 v[6:7], s[4:5], s19, v37, v[6:7]
	v_mov_b32_e32 v5, v6
	v_add_u32_e32 v7, 0x294, v36
	v_lshl_add_u64 v[12:13], v[4:5], 3, v[2:3]
	v_mad_u64_u32 v[4:5], s[4:5], s18, v7, 0
	v_mov_b32_e32 v6, v5
	v_mad_u64_u32 v[6:7], s[4:5], s19, v7, v[6:7]
	v_lshl_add_u64 v[0:1], v[0:1], 3, v[2:3]
	v_mov_b32_e32 v5, v6
	v_lshl_add_u64 v[14:15], v[4:5], 3, v[2:3]
	global_load_dwordx2 v[6:7], v[0:1], off
	global_load_dwordx2 v[16:17], v[8:9], off
	;; [unrolled: 1-line block ×4, first 2 shown]
	v_add_u32_e32 v1, 0xdc, v36
	v_mad_u64_u32 v[8:9], s[4:5], s18, v1, 0
	v_mov_b32_e32 v0, v9
	v_mad_u64_u32 v[12:13], s[4:5], s19, v1, v[0:1]
	v_mov_b32_e32 v9, v12
	v_add_u32_e32 v12, 0x302, v36
	v_lshl_add_u64 v[18:19], v[8:9], 3, v[2:3]
	v_mad_u64_u32 v[8:9], s[4:5], s18, v12, 0
	v_mov_b32_e32 v0, v9
	v_mad_u64_u32 v[12:13], s[4:5], s19, v12, v[0:1]
	v_mov_b32_e32 v9, v12
	v_add_u32_e32 v28, 0x14a, v36
	v_lshl_add_u64 v[24:25], v[8:9], 3, v[2:3]
	;; [unrolled: 6-line block ×4, first 2 shown]
	global_load_dwordx2 v[12:13], v[18:19], off
	global_load_dwordx2 v[26:27], v[24:25], off
	;; [unrolled: 1-line block ×4, first 2 shown]
	v_mad_u64_u32 v[18:19], s[4:5], s18, v29, 0
	v_mov_b32_e32 v0, v19
	v_mad_u64_u32 v[24:25], s[4:5], s19, v29, v[0:1]
	v_mov_b32_e32 v19, v24
	v_add_u32_e32 v24, 0x3de, v36
	v_lshl_add_u64 v[30:31], v[18:19], 3, v[2:3]
	v_mad_u64_u32 v[18:19], s[4:5], s18, v24, 0
	v_mov_b32_e32 v0, v19
	v_mad_u64_u32 v[24:25], s[4:5], s19, v24, v[0:1]
	v_mov_b32_e32 v19, v24
	v_lshl_add_u64 v[2:3], v[18:19], 3, v[2:3]
	global_load_dwordx2 v[18:19], v[30:31], off
	global_load_dwordx2 v[24:25], v[2:3], off
.LBB0_13:
	s_or_b64 exec, exec, s[0:1]
	s_waitcnt vmcnt(8)
	v_pk_add_f32 v[2:3], v[6:7], v[16:17] neg_lo:[0,1] neg_hi:[0,1]
	v_lshl_add_u32 v38, v36, 4, 0
	v_pk_fma_f32 v[6:7], v[6:7], 2.0, v[2:3] op_sel_hi:[1,0,1] neg_lo:[0,0,1] neg_hi:[0,0,1]
	ds_write2_b64 v38, v[6:7], v[2:3] offset1:1
	s_waitcnt vmcnt(6)
	v_pk_add_f32 v[2:3], v[4:5], v[10:11] neg_lo:[0,1] neg_hi:[0,1]
	v_lshl_add_u32 v39, v37, 4, 0
	v_pk_fma_f32 v[4:5], v[4:5], 2.0, v[2:3] op_sel_hi:[1,0,1] neg_lo:[0,0,1] neg_hi:[0,0,1]
	ds_write2_b64 v39, v[4:5], v[2:3] offset1:1
	;; [unrolled: 5-line block ×5, first 2 shown]
	v_and_b32_e32 v2, 1, v36
	v_lshlrev_b32_e32 v3, 3, v2
	s_load_dwordx2 s[2:3], s[2:3], 0x0
	s_waitcnt lgkmcnt(0)
	s_barrier
	global_load_dwordx2 v[26:27], v3, s[8:9]
	v_lshlrev_b32_e32 v8, 3, v36
	v_lshlrev_b32_e32 v3, 1, v36
	;; [unrolled: 1-line block ×10, first 2 shown]
	s_movk_i32 s0, 0xfc
	s_movk_i32 s1, 0x1fc
	s_movk_i32 s4, 0x3fc
	s_movk_i32 s5, 0x7fc
	v_sub_u32_e32 v14, v38, v8
	v_sub_u32_e32 v29, 0, v8
	;; [unrolled: 1-line block ×6, first 2 shown]
	v_and_or_b32 v3, v3, s0, v2
	v_and_or_b32 v4, v4, s1, v2
	;; [unrolled: 1-line block ×5, first 2 shown]
	v_add_u32_e32 v2, 0x1000, v14
	ds_read_b64 v[32:33], v14
	ds_read_b64 v[8:9], v8
	v_add_u32_e32 v7, 0x1800, v14
	ds_read_b64 v[10:11], v0
	ds_read_b64 v[12:13], v1
	;; [unrolled: 1-line block ×3, first 2 shown]
	ds_read_b64 v[14:15], v14 offset:7920
	v_lshl_add_u32 v48, v3, 3, 0
	ds_read2_b64 v[0:3], v2 offset0:38 offset1:148
	v_lshl_add_u32 v49, v4, 3, 0
	v_lshl_add_u32 v50, v5, 3, 0
	v_lshl_add_u32 v51, v6, 3, 0
	ds_read2_b64 v[4:7], v7 offset0:2 offset1:112
	v_lshl_add_u32 v52, v16, 3, 0
	s_waitcnt lgkmcnt(1)
	v_mov_b32_e32 v16, v1
	s_movk_i32 s0, 0x64
	v_cmp_gt_u32_e64 s[0:1], s0, v36
	v_add_u32_e32 v38, v38, v29
	s_waitcnt lgkmcnt(0)
	s_barrier
	s_waitcnt vmcnt(0)
	v_pk_mul_f32 v[18:19], v[26:27], v[0:1] op_sel_hi:[1,0]
	v_pk_mul_f32 v[42:43], v[26:27], v[6:7] op_sel:[0,1]
	v_pk_mul_f32 v[44:45], v[26:27], v[4:5] op_sel:[0,1]
	v_pk_fma_f32 v[16:17], v[26:27], v[16:17], v[18:19] op_sel:[0,0,1] op_sel_hi:[1,1,0]
	v_pk_fma_f32 v[0:1], v[26:27], v[0:1], v[18:19] op_sel:[0,1,1] op_sel_hi:[1,1,0] neg_lo:[1,0,0] neg_hi:[1,0,0]
	v_pk_mul_f32 v[24:25], v[26:27], v[14:15] op_sel:[0,1]
	v_pk_fma_f32 v[46:47], v[26:27], v[6:7], v[42:43] op_sel:[0,0,1] op_sel_hi:[1,1,0] neg_lo:[0,0,1] neg_hi:[0,0,1]
	v_pk_fma_f32 v[6:7], v[26:27], v[6:7], v[42:43] op_sel:[0,0,1] op_sel_hi:[1,0,0]
	v_pk_fma_f32 v[42:43], v[26:27], v[4:5], v[44:45] op_sel:[0,0,1] op_sel_hi:[1,1,0] neg_lo:[0,0,1] neg_hi:[0,0,1]
	v_mov_b32_e32 v17, v1
	v_pk_fma_f32 v[0:1], v[26:27], v[4:5], v[44:45] op_sel:[0,0,1] op_sel_hi:[1,0,0]
	v_pk_fma_f32 v[18:19], v[26:27], v[14:15], v[24:25] op_sel:[0,0,1] op_sel_hi:[1,1,0] neg_lo:[0,0,1] neg_hi:[0,0,1]
	v_pk_fma_f32 v[14:15], v[26:27], v[14:15], v[24:25] op_sel:[0,0,1] op_sel_hi:[1,0,0]
	v_mov_b32_e32 v43, v1
	v_pk_mul_f32 v[0:1], v[26:27], v[2:3] op_sel:[0,1]
	v_mov_b32_e32 v19, v15
	v_mov_b32_e32 v47, v7
	v_pk_fma_f32 v[4:5], v[26:27], v[2:3], v[0:1] op_sel:[0,0,1] op_sel_hi:[1,1,0] neg_lo:[0,0,1] neg_hi:[0,0,1]
	v_pk_fma_f32 v[0:1], v[26:27], v[2:3], v[0:1] op_sel:[0,0,1] op_sel_hi:[1,0,0]
	v_pk_add_f32 v[18:19], v[12:13], v[18:19] neg_lo:[0,1] neg_hi:[0,1]
	v_pk_add_f32 v[14:15], v[10:11], v[46:47] neg_lo:[0,1] neg_hi:[0,1]
	v_mov_b32_e32 v5, v1
	v_pk_add_f32 v[24:25], v[32:33], v[16:17] op_sel:[1,0] op_sel_hi:[0,1] neg_lo:[0,1] neg_hi:[0,1]
	v_pk_fma_f32 v[16:17], v[12:13], 2.0, v[18:19] op_sel_hi:[1,0,1] neg_lo:[0,0,1] neg_hi:[0,0,1]
	v_pk_fma_f32 v[12:13], v[10:11], 2.0, v[14:15] op_sel_hi:[1,0,1] neg_lo:[0,0,1] neg_hi:[0,0,1]
	v_pk_add_f32 v[10:11], v[8:9], v[42:43] neg_lo:[0,1] neg_hi:[0,1]
	v_pk_add_f32 v[6:7], v[34:35], v[4:5] neg_lo:[0,1] neg_hi:[0,1]
	v_pk_fma_f32 v[8:9], v[8:9], 2.0, v[10:11] op_sel_hi:[1,0,1] neg_lo:[0,0,1] neg_hi:[0,0,1]
	v_pk_fma_f32 v[4:5], v[34:35], 2.0, v[6:7] op_sel_hi:[1,0,1] neg_lo:[0,0,1] neg_hi:[0,0,1]
	v_pk_fma_f32 v[0:1], v[32:33], 2.0, v[24:25] op_sel:[0,0,1] op_sel_hi:[1,0,0] neg_lo:[0,0,1] neg_hi:[0,0,1]
	v_mov_b32_e32 v2, v25
	v_mov_b32_e32 v3, v24
	ds_write2_b64 v48, v[0:1], v[2:3] offset1:2
	ds_write2_b64 v49, v[4:5], v[6:7] offset1:2
	;; [unrolled: 1-line block ×5, first 2 shown]
	s_waitcnt lgkmcnt(0)
	s_barrier
	s_waitcnt lgkmcnt(0)
                                        ; implicit-def: $vgpr27
	s_and_saveexec_b64 s[4:5], s[0:1]
	s_cbranch_execz .LBB0_15
; %bb.14:
	ds_read2_b64 v[0:3], v38 offset1:100
	v_add_u32_e32 v4, 0x400, v38
	v_add_u32_e32 v8, 0x800, v38
	;; [unrolled: 1-line block ×4, first 2 shown]
	ds_read2_b64 v[4:7], v4 offset0:72 offset1:172
	ds_read2_b64 v[8:11], v8 offset0:144 offset1:244
	;; [unrolled: 1-line block ×4, first 2 shown]
	ds_read_b64 v[26:27], v38 offset:8000
	s_waitcnt lgkmcnt(5)
	v_mov_b32_e32 v24, v3
	v_mov_b32_e32 v25, v2
.LBB0_15:
	s_or_b64 exec, exec, s[4:5]
	v_sub_u32_e32 v42, 0, v30
	v_sub_u32_e32 v43, 0, v31
	v_sub_u32_e32 v44, 0, v28
	s_waitcnt lgkmcnt(0)
	s_barrier
	s_and_saveexec_b64 s[4:5], s[0:1]
	s_cbranch_execz .LBB0_17
; %bb.16:
	v_and_b32_e32 v3, 3, v36
	v_mul_u32_u24_e32 v2, 10, v3
	v_lshlrev_b32_e32 v2, 3, v2
	global_load_dwordx4 v[28:31], v2, s[8:9] offset:80
	global_load_dwordx4 v[32:35], v2, s[8:9] offset:64
	;; [unrolled: 1-line block ×5, first 2 shown]
	v_mov_b32_e32 v62, v5
	v_lshrrev_b32_e32 v5, 2, v36
	v_mul_u32_u24_e32 v5, 44, v5
	v_mov_b32_e32 v2, v27
	v_mov_b32_e32 v60, v19
	v_or_b32_e32 v3, v5, v3
	v_mov_b32_e32 v68, v15
	v_mov_b32_e32 v72, v13
	v_lshl_add_u32 v45, v3, 3, 0
	v_mov_b32_e32 v58, v25
	v_mov_b32_e32 v64, v17
	;; [unrolled: 1-line block ×5, first 2 shown]
	s_mov_b32 s18, 0x3f575c64
	s_mov_b32 s19, 0xbf0a6770
	;; [unrolled: 1-line block ×32, first 2 shown]
	s_waitcnt vmcnt(4)
	v_pk_mul_f32 v[2:3], v[2:3], v[30:31] op_sel_hi:[0,1]
	v_pk_mul_f32 v[60:61], v[60:61], v[28:29] op_sel_hi:[0,1]
	s_waitcnt vmcnt(3)
	v_pk_mul_f32 v[68:69], v[68:69], v[32:33] op_sel_hi:[0,1]
	s_waitcnt vmcnt(1)
	v_pk_mul_f32 v[76:77], v[24:25], v[50:51]
	v_pk_mul_f32 v[72:73], v[72:73], v[48:49] op_sel_hi:[0,1]
	v_mov_b32_e32 v76, v51
	v_pk_fma_f32 v[78:79], v[26:27], v[30:31], v[2:3] op_sel:[0,0,1] op_sel_hi:[0,1,0] neg_lo:[0,0,1] neg_hi:[0,0,1]
	v_pk_fma_f32 v[26:27], v[26:27], v[30:31], v[2:3] op_sel:[0,0,1] op_sel_hi:[0,1,0]
	v_pk_fma_f32 v[2:3], v[18:19], v[28:29], v[60:61] op_sel:[0,0,1] op_sel_hi:[0,1,0]
	v_pk_fma_f32 v[30:31], v[18:19], v[28:29], v[60:61] op_sel:[0,0,1] op_sel_hi:[1,1,0] neg_lo:[0,0,1] neg_hi:[0,0,1]
	v_pk_fma_f32 v[28:29], v[14:15], v[32:33], v[68:69] op_sel:[0,0,1] op_sel_hi:[1,1,0] neg_lo:[0,0,1] neg_hi:[0,0,1]
	v_pk_fma_f32 v[14:15], v[14:15], v[32:33], v[68:69] op_sel:[0,0,1] op_sel_hi:[0,1,0]
	v_pk_fma_f32 v[32:33], v[12:13], v[48:49], v[72:73] op_sel:[0,0,1] op_sel_hi:[1,1,0] neg_lo:[0,0,1] neg_hi:[0,0,1]
	v_pk_fma_f32 v[12:13], v[12:13], v[48:49], v[72:73] op_sel:[0,0,1] op_sel_hi:[0,1,0]
	v_mov_b32_e32 v2, v77
	v_pk_mul_f32 v[48:49], v[24:25], v[76:77]
	v_pk_mul_f32 v[64:65], v[64:65], v[34:35] op_sel_hi:[0,1]
	v_pk_mul_f32 v[74:75], v[74:75], v[46:47] op_sel_hi:[0,1]
	s_waitcnt vmcnt(0)
	v_pk_mul_f32 v[70:71], v[70:71], v[56:57] op_sel_hi:[0,1]
	v_pk_mul_f32 v[62:63], v[62:63], v[52:53] op_sel_hi:[0,1]
	;; [unrolled: 1-line block ×3, first 2 shown]
	v_pk_fma_f32 v[24:25], v[24:25], v[50:51], v[2:3]
	v_pk_fma_f32 v[48:49], v[58:59], v[50:51], v[48:49] neg_lo:[0,0,1] neg_hi:[0,0,1]
	v_pk_fma_f32 v[18:19], v[16:17], v[34:35], v[64:65] op_sel:[0,0,1] op_sel_hi:[1,1,0] neg_lo:[0,0,1] neg_hi:[0,0,1]
	v_pk_fma_f32 v[16:17], v[16:17], v[34:35], v[64:65] op_sel:[0,0,1] op_sel_hi:[0,1,0]
	v_pk_fma_f32 v[34:35], v[10:11], v[46:47], v[74:75] op_sel:[0,0,1] op_sel_hi:[1,1,0] neg_lo:[0,0,1] neg_hi:[0,0,1]
	v_pk_fma_f32 v[10:11], v[10:11], v[46:47], v[74:75] op_sel:[0,0,1] op_sel_hi:[0,1,0]
	;; [unrolled: 2-line block ×5, first 2 shown]
	v_mov_b32_e32 v33, v13
	v_pk_add_f32 v[12:13], v[48:49], v[78:79] neg_lo:[0,1] neg_hi:[0,1]
	v_pk_add_f32 v[64:65], v[48:49], v[78:79]
	v_mov_b32_e32 v49, v24
	v_mov_b32_e32 v55, v5
	;; [unrolled: 1-line block ×3, first 2 shown]
	v_pk_add_f32 v[14:15], v[0:1], v[48:49]
	v_mov_b32_e32 v57, v7
	v_pk_add_f32 v[14:15], v[14:15], v[54:55]
	v_mov_b32_e32 v47, v9
	;; [unrolled: 2-line block ×7, first 2 shown]
	v_pk_add_f32 v[66:67], v[24:25], v[10:11] neg_lo:[0,1] neg_hi:[0,1]
	v_pk_add_f32 v[10:11], v[10:11], v[26:27]
	v_mov_b32_e32 v65, v12
	v_pk_add_f32 v[14:15], v[14:15], v[18:19]
	v_mov_b32_e32 v50, v78
	v_mov_b32_e32 v51, v27
	v_pk_mul_f32 v[12:13], v[64:65], s[18:19]
	v_mov_b32_e32 v10, v66
	v_pk_add_f32 v[14:15], v[14:15], v[30:31]
	v_pk_add_f32 v[8:9], v[54:55], v[30:31]
	v_pk_add_f32 v[52:53], v[54:55], v[30:31] neg_lo:[0,1] neg_hi:[0,1]
	v_pk_add_f32 v[4:5], v[46:47], v[28:29]
	v_pk_add_f32 v[60:61], v[46:47], v[28:29] neg_lo:[0,1] neg_hi:[0,1]
	v_pk_add_f32 v[46:47], v[14:15], v[50:51]
	v_pk_fma_f32 v[16:17], v[66:67], s[0:1], v[12:13] neg_lo:[1,0,0] neg_hi:[1,0,0]
	v_pk_fma_f32 v[14:15], v[10:11], s[0:1], v[12:13]
	v_mov_b32_e32 v48, v8
	v_mov_b32_e32 v17, v15
	v_mov_b32_e32 v49, v52
	v_pk_add_f32 v[24:25], v[0:1], v[16:17]
	v_pk_mul_f32 v[16:17], v[48:49], s[24:25]
	v_mov_b32_e32 v8, v53
	v_pk_add_f32 v[6:7], v[56:57], v[18:19]
	v_pk_add_f32 v[58:59], v[56:57], v[18:19] neg_lo:[0,1] neg_hi:[0,1]
	v_pk_fma_f32 v[26:27], v[8:9], s[10:11], v[16:17] neg_lo:[1,0,0] neg_hi:[1,0,0]
	v_pk_fma_f32 v[18:19], v[8:9], s[10:11], v[16:17]
	v_mov_b32_e32 v50, v6
	v_mov_b32_e32 v27, v19
	;; [unrolled: 1-line block ×3, first 2 shown]
	v_pk_add_f32 v[28:29], v[26:27], v[24:25]
	v_pk_mul_f32 v[24:25], v[50:51], s[28:29]
	v_mov_b32_e32 v6, v59
	v_pk_fma_f32 v[30:31], v[6:7], s[12:13], v[24:25] neg_lo:[1,0,0] neg_hi:[1,0,0]
	v_pk_fma_f32 v[26:27], v[6:7], s[12:13], v[24:25]
	v_mov_b32_e32 v52, v4
	v_mov_b32_e32 v31, v27
	;; [unrolled: 1-line block ×3, first 2 shown]
	v_pk_add_f32 v[2:3], v[34:35], v[32:33]
	v_pk_add_f32 v[62:63], v[34:35], v[32:33] neg_lo:[0,1] neg_hi:[0,1]
	v_pk_add_f32 v[32:33], v[30:31], v[28:29]
	v_pk_mul_f32 v[28:29], v[52:53], s[34:35]
	v_mov_b32_e32 v4, v61
	v_pk_fma_f32 v[34:35], v[4:5], s[14:15], v[28:29] neg_lo:[1,0,0] neg_hi:[1,0,0]
	v_pk_fma_f32 v[30:31], v[4:5], s[14:15], v[28:29]
	v_mov_b32_e32 v56, v2
	v_mov_b32_e32 v35, v31
	;; [unrolled: 1-line block ×3, first 2 shown]
	v_pk_add_f32 v[54:55], v[34:35], v[32:33]
	v_pk_mul_f32 v[32:33], v[56:57], s[38:39]
	v_mov_b32_e32 v2, v63
	v_pk_fma_f32 v[58:59], v[2:3], s[20:21], v[32:33] neg_lo:[1,0,0] neg_hi:[1,0,0]
	v_pk_fma_f32 v[34:35], v[2:3], s[20:21], v[32:33]
	v_pk_mul_f32 v[60:61], v[48:49], s[34:35]
	v_mov_b32_e32 v59, v35
	v_pk_add_f32 v[54:55], v[58:59], v[54:55]
	ds_write2_b64 v45, v[46:47], v[54:55] offset1:4
	v_pk_mul_f32 v[46:47], v[64:65], s[24:25]
	v_pk_fma_f32 v[62:63], v[8:9], s[14:15], v[60:61] neg_lo:[1,0,0] neg_hi:[1,0,0]
	v_pk_fma_f32 v[54:55], v[66:67], s[10:11], v[46:47] neg_lo:[1,0,0] neg_hi:[1,0,0]
	v_pk_fma_f32 v[58:59], v[10:11], s[10:11], v[46:47]
	v_pk_fma_f32 v[68:69], v[8:9], s[14:15], v[60:61]
	v_mov_b32_e32 v55, v59
	v_pk_add_f32 v[54:55], v[0:1], v[54:55]
	v_mov_b32_e32 v63, v69
	v_pk_add_f32 v[54:55], v[62:63], v[54:55]
	v_pk_mul_f32 v[62:63], v[50:51], s[36:37]
	v_pk_mul_f32 v[86:87], v[48:49], s[36:37]
	v_pk_fma_f32 v[70:71], v[6:7], s[22:23], v[62:63] neg_lo:[1,0,0] neg_hi:[1,0,0]
	v_pk_fma_f32 v[72:73], v[6:7], s[22:23], v[62:63]
	v_pk_fma_f32 v[88:89], v[8:9], s[22:23], v[86:87] neg_lo:[1,0,0] neg_hi:[1,0,0]
	v_mov_b32_e32 v71, v73
	v_pk_add_f32 v[54:55], v[70:71], v[54:55]
	v_pk_mul_f32 v[70:71], v[52:53], s[40:41]
	v_pk_fma_f32 v[90:91], v[8:9], s[22:23], v[86:87]
	v_pk_fma_f32 v[74:75], v[4:5], s[26:27], v[70:71] neg_lo:[1,0,0] neg_hi:[1,0,0]
	v_pk_fma_f32 v[76:77], v[4:5], s[26:27], v[70:71]
	v_mov_b32_e32 v89, v91
	v_mov_b32_e32 v75, v77
	v_pk_add_f32 v[54:55], v[74:75], v[54:55]
	v_pk_mul_f32 v[74:75], v[56:57], s[42:43]
	s_mov_b32 s25, 0x3f68dda4
	v_pk_fma_f32 v[78:79], v[2:3], s[30:31], v[74:75] neg_lo:[1,0,0] neg_hi:[1,0,0]
	v_pk_fma_f32 v[80:81], v[2:3], s[30:31], v[74:75]
	s_mov_b32 s36, s25
	v_mov_b32_e32 v79, v81
	v_pk_add_f32 v[54:55], v[78:79], v[54:55]
	v_pk_mul_f32 v[78:79], v[64:65], s[28:29]
	s_mov_b32 s37, s24
	v_pk_fma_f32 v[82:83], v[66:67], s[12:13], v[78:79] neg_lo:[1,0,0] neg_hi:[1,0,0]
	v_pk_fma_f32 v[84:85], v[10:11], s[12:13], v[78:79]
	v_pk_mul_f32 v[104:105], v[48:49], s[40:41]
	v_mov_b32_e32 v83, v85
	v_pk_add_f32 v[82:83], v[0:1], v[82:83]
	v_pk_fma_f32 v[106:107], v[8:9], s[26:27], v[104:105] neg_lo:[1,0,0] neg_hi:[1,0,0]
	v_pk_add_f32 v[82:83], v[88:89], v[82:83]
	v_pk_mul_f32 v[88:89], v[50:51], s[24:25]
	v_pk_fma_f32 v[108:109], v[8:9], s[26:27], v[104:105]
	v_pk_fma_f32 v[92:93], v[6:7], s[36:37], v[88:89] neg_lo:[1,0,0] neg_hi:[1,0,0]
	v_pk_fma_f32 v[94:95], v[6:7], s[36:37], v[88:89]
	v_mov_b32_e32 v107, v109
	v_mov_b32_e32 v93, v95
	v_pk_add_f32 v[82:83], v[92:93], v[82:83]
	v_pk_mul_f32 v[92:93], v[52:53], s[18:19]
	v_pk_mul_f32 v[48:49], v[48:49], s[42:43]
	v_pk_fma_f32 v[96:97], v[4:5], s[0:1], v[92:93] neg_lo:[1,0,0] neg_hi:[1,0,0]
	v_pk_fma_f32 v[98:99], v[4:5], s[0:1], v[92:93]
	v_pk_fma_f32 v[122:123], v[8:9], s[30:31], v[48:49] neg_lo:[1,0,0] neg_hi:[1,0,0]
	v_mov_b32_e32 v97, v99
	v_pk_add_f32 v[82:83], v[96:97], v[82:83]
	v_pk_mul_f32 v[96:97], v[56:57], s[34:35]
	v_pk_fma_f32 v[124:125], v[8:9], s[30:31], v[48:49]
	v_pk_fma_f32 v[100:101], v[2:3], s[14:15], v[96:97] neg_lo:[1,0,0] neg_hi:[1,0,0]
	v_pk_fma_f32 v[102:103], v[2:3], s[14:15], v[96:97]
	v_mov_b32_e32 v123, v125
	v_mov_b32_e32 v101, v103
	v_pk_add_f32 v[82:83], v[100:101], v[82:83]
	ds_write2_b64 v45, v[54:55], v[82:83] offset0:8 offset1:12
	v_pk_mul_f32 v[54:55], v[64:65], s[34:35]
	v_pk_mul_f32 v[64:65], v[64:65], s[38:39]
	v_pk_fma_f32 v[82:83], v[66:67], s[14:15], v[54:55] neg_lo:[1,0,0] neg_hi:[1,0,0]
	v_pk_fma_f32 v[100:101], v[10:11], s[14:15], v[54:55]
	v_pk_fma_f32 v[66:67], v[66:67], s[20:21], v[64:65] neg_lo:[1,0,0] neg_hi:[1,0,0]
	v_mov_b32_e32 v83, v101
	v_pk_add_f32 v[82:83], v[0:1], v[82:83]
	v_pk_fma_f32 v[48:49], v[8:9], s[30:31], v[48:49] neg_lo:[0,0,1] neg_hi:[0,0,1]
	v_pk_add_f32 v[82:83], v[106:107], v[82:83]
	v_pk_mul_f32 v[106:107], v[50:51], s[18:19]
	v_pk_mul_f32 v[50:51], v[50:51], s[34:35]
	v_pk_fma_f32 v[110:111], v[6:7], s[0:1], v[106:107] neg_lo:[1,0,0] neg_hi:[1,0,0]
	v_pk_fma_f32 v[112:113], v[6:7], s[0:1], v[106:107]
	v_pk_fma_f32 v[126:127], v[6:7], s[14:15], v[50:51]
	v_mov_b32_e32 v111, v113
	v_pk_add_f32 v[82:83], v[110:111], v[82:83]
	v_pk_mul_f32 v[110:111], v[52:53], s[38:39]
	v_pk_mul_f32 v[52:53], v[52:53], s[24:25]
	v_pk_fma_f32 v[114:115], v[4:5], s[20:21], v[110:111] neg_lo:[1,0,0] neg_hi:[1,0,0]
	v_pk_fma_f32 v[116:117], v[4:5], s[20:21], v[110:111]
	v_pk_fma_f32 v[128:129], v[4:5], s[36:37], v[52:53]
	v_mov_b32_e32 v115, v117
	;; [unrolled: 7-line block ×3, first 2 shown]
	v_pk_add_f32 v[82:83], v[118:119], v[82:83]
	v_pk_fma_f32 v[118:119], v[10:11], s[20:21], v[64:65]
	v_pk_fma_f32 v[64:65], v[10:11], s[20:21], v[64:65] neg_lo:[0,0,1] neg_hi:[0,0,1]
	v_mov_b32_e32 v67, v119
	v_pk_add_f32 v[66:67], v[0:1], v[66:67]
	v_mov_b32_e32 v119, v65
	v_pk_add_f32 v[66:67], v[122:123], v[66:67]
	v_pk_fma_f32 v[122:123], v[6:7], s[14:15], v[50:51] neg_lo:[1,0,0] neg_hi:[1,0,0]
	v_pk_fma_f32 v[50:51], v[6:7], s[14:15], v[50:51] neg_lo:[0,0,1] neg_hi:[0,0,1]
	v_mov_b32_e32 v123, v127
	v_pk_add_f32 v[66:67], v[122:123], v[66:67]
	v_pk_fma_f32 v[122:123], v[4:5], s[36:37], v[52:53] neg_lo:[1,0,0] neg_hi:[1,0,0]
	v_mov_b32_e32 v127, v51
	v_mov_b32_e32 v123, v129
	v_pk_fma_f32 v[50:51], v[4:5], s[36:37], v[52:53] neg_lo:[0,0,1] neg_hi:[0,0,1]
	v_pk_add_f32 v[66:67], v[122:123], v[66:67]
	v_pk_fma_f32 v[122:123], v[2:3], s[12:13], v[56:57] neg_lo:[1,0,0] neg_hi:[1,0,0]
	v_mov_b32_e32 v129, v51
	v_pk_fma_f32 v[50:51], v[2:3], s[12:13], v[56:57] neg_lo:[0,0,1] neg_hi:[0,0,1]
	v_mov_b32_e32 v123, v131
	v_mov_b32_e32 v131, v51
	v_pk_fma_f32 v[50:51], v[10:11], s[14:15], v[54:55] neg_lo:[0,0,1] neg_hi:[0,0,1]
	v_mov_b32_e32 v125, v49
	v_mov_b32_e32 v101, v51
	v_pk_fma_f32 v[50:51], v[8:9], s[26:27], v[104:105] neg_lo:[0,0,1] neg_hi:[0,0,1]
	v_pk_add_f32 v[48:49], v[0:1], v[118:119]
	v_mov_b32_e32 v109, v51
	v_pk_add_f32 v[50:51], v[0:1], v[100:101]
	v_pk_fma_f32 v[52:53], v[6:7], s[0:1], v[106:107] neg_lo:[0,0,1] neg_hi:[0,0,1]
	v_pk_add_f32 v[48:49], v[124:125], v[48:49]
	v_pk_add_f32 v[50:51], v[108:109], v[50:51]
	v_mov_b32_e32 v113, v53
	v_pk_fma_f32 v[52:53], v[4:5], s[20:21], v[110:111] neg_lo:[0,0,1] neg_hi:[0,0,1]
	v_pk_add_f32 v[48:49], v[126:127], v[48:49]
	v_pk_add_f32 v[50:51], v[112:113], v[50:51]
	v_mov_b32_e32 v117, v53
	;; [unrolled: 4-line block ×3, first 2 shown]
	v_pk_add_f32 v[48:49], v[130:131], v[48:49]
	v_pk_add_f32 v[50:51], v[120:121], v[50:51]
	ds_write2_b64 v45, v[48:49], v[50:51] offset0:24 offset1:28
	v_pk_fma_f32 v[50:51], v[6:7], s[36:37], v[88:89] neg_lo:[0,0,1] neg_hi:[0,0,1]
	v_pk_fma_f32 v[48:49], v[10:11], s[12:13], v[78:79] neg_lo:[0,0,1] neg_hi:[0,0,1]
	v_mov_b32_e32 v95, v51
	v_pk_fma_f32 v[50:51], v[4:5], s[0:1], v[92:93] neg_lo:[0,0,1] neg_hi:[0,0,1]
	v_pk_fma_f32 v[46:47], v[10:11], s[10:11], v[46:47] neg_lo:[0,0,1] neg_hi:[0,0,1]
	v_mov_b32_e32 v99, v51
	;; [unrolled: 3-line block ×3, first 2 shown]
	v_pk_fma_f32 v[48:49], v[8:9], s[22:23], v[86:87] neg_lo:[0,0,1] neg_hi:[0,0,1]
	v_mov_b32_e32 v103, v51
	v_mov_b32_e32 v59, v47
	v_pk_fma_f32 v[50:51], v[8:9], s[14:15], v[60:61] neg_lo:[0,0,1] neg_hi:[0,0,1]
	v_mov_b32_e32 v15, v11
	v_pk_fma_f32 v[8:9], v[8:9], s[10:11], v[16:17] neg_lo:[0,0,1] neg_hi:[0,0,1]
	v_mov_b32_e32 v91, v49
	v_pk_add_f32 v[48:49], v[0:1], v[84:85]
	v_pk_add_f32 v[46:47], v[0:1], v[58:59]
	v_mov_b32_e32 v69, v51
	v_pk_fma_f32 v[50:51], v[6:7], s[22:23], v[62:63] neg_lo:[0,0,1] neg_hi:[0,0,1]
	v_pk_add_f32 v[0:1], v[0:1], v[14:15]
	v_mov_b32_e32 v19, v9
	v_pk_fma_f32 v[6:7], v[6:7], s[12:13], v[24:25] neg_lo:[0,0,1] neg_hi:[0,0,1]
	v_pk_add_f32 v[48:49], v[90:91], v[48:49]
	v_pk_add_f32 v[46:47], v[68:69], v[46:47]
	v_mov_b32_e32 v73, v51
	v_pk_fma_f32 v[50:51], v[4:5], s[26:27], v[70:71] neg_lo:[0,0,1] neg_hi:[0,0,1]
	v_pk_add_f32 v[0:1], v[18:19], v[0:1]
	v_mov_b32_e32 v27, v7
	v_pk_fma_f32 v[4:5], v[4:5], s[14:15], v[28:29] neg_lo:[0,0,1] neg_hi:[0,0,1]
	;; [unrolled: 7-line block ×3, first 2 shown]
	v_pk_add_f32 v[48:49], v[98:99], v[48:49]
	v_pk_add_f32 v[46:47], v[76:77], v[46:47]
	v_mov_b32_e32 v81, v51
	v_pk_add_f32 v[0:1], v[30:31], v[0:1]
	v_mov_b32_e32 v35, v3
	v_pk_add_f32 v[66:67], v[122:123], v[66:67]
	v_pk_add_f32 v[48:49], v[102:103], v[48:49]
	;; [unrolled: 1-line block ×4, first 2 shown]
	ds_write2_b64 v45, v[82:83], v[66:67] offset0:16 offset1:20
	ds_write2_b64 v45, v[48:49], v[46:47] offset0:32 offset1:36
	ds_write_b64 v45, v[0:1] offset:320
.LBB0_17:
	s_or_b64 exec, exec, s[4:5]
	s_movk_i32 s0, 0xbb
	v_mul_lo_u16_sdwa v1, v37, s0 dst_sel:DWORD dst_unused:UNUSED_PAD src0_sel:BYTE_0 src1_sel:DWORD
	v_lshrrev_b16_e32 v17, 13, v1
	v_mul_lo_u16_sdwa v0, v36, s0 dst_sel:DWORD dst_unused:UNUSED_PAD src0_sel:BYTE_0 src1_sel:DWORD
	v_mul_lo_u16_e32 v1, 44, v17
	v_lshrrev_b16_e32 v5, 13, v0
	v_mov_b32_e32 v0, 5
	v_sub_u16_e32 v52, v37, v1
	v_lshlrev_b32_sdwa v1, v0, v52 dst_sel:DWORD dst_unused:UNUSED_PAD src0_sel:DWORD src1_sel:BYTE_0
	s_waitcnt lgkmcnt(0)
	s_barrier
	global_load_dwordx4 v[6:9], v1, s[8:9] offset:352
	global_load_dwordx4 v[10:13], v1, s[8:9] offset:336
	v_mul_lo_u16_e32 v1, 44, v5
	v_sub_u16_e32 v53, v36, v1
	v_lshlrev_b32_sdwa v0, v0, v53 dst_sel:DWORD dst_unused:UNUSED_PAD src0_sel:DWORD src1_sel:BYTE_0
	global_load_dwordx4 v[24:27], v0, s[8:9] offset:336
	global_load_dwordx4 v[28:31], v0, s[8:9] offset:352
	v_add_u32_e32 v15, v40, v43
	v_add_u32_e32 v16, v41, v44
	;; [unrolled: 1-line block ×6, first 2 shown]
	ds_read_b64 v[2:3], v15
	ds_read_b64 v[18:19], v16
	ds_read2_b64 v[32:35], v0 offset0:20 offset1:130
	ds_read2_b64 v[40:43], v4 offset0:112 offset1:222
	;; [unrolled: 1-line block ×3, first 2 shown]
	ds_read_b64 v[48:49], v14
	ds_read_b64 v[50:51], v38
	v_mov_b32_e32 v54, 3
	v_mul_u32_u24_e32 v17, 0x6e0, v17
	v_lshlrev_b32_sdwa v52, v54, v52 dst_sel:DWORD dst_unused:UNUSED_PAD src0_sel:DWORD src1_sel:BYTE_0
	v_lshlrev_b32_sdwa v39, v54, v53 dst_sel:DWORD dst_unused:UNUSED_PAD src0_sel:DWORD src1_sel:BYTE_0
	v_add3_u32 v17, 0, v17, v52
	s_mov_b32 s0, 0x3f737871
	s_mov_b32 s4, 0x3f167918
	v_mul_u32_u24_e32 v5, 0x6e0, v5
	s_mov_b32 s10, 0x3e9e377a
	v_add3_u32 v5, 0, v5, v39
	s_waitcnt lgkmcnt(0)
	s_barrier
	s_waitcnt vmcnt(3)
	v_pk_mul_f32 v[56:57], v[34:35], v[6:7] op_sel:[0,1]
	s_waitcnt vmcnt(2)
	v_pk_mul_f32 v[52:53], v[10:11], v[44:45] op_sel:[0,1]
	v_mov_b32_e32 v54, v13
	v_pk_fma_f32 v[68:69], v[10:11], v[44:45], v[52:53] op_sel:[0,0,1] op_sel_hi:[1,1,0] neg_lo:[0,0,1] neg_hi:[0,0,1]
	s_waitcnt vmcnt(1)
	v_pk_mul_f32 v[60:61], v[24:25], v[2:3] op_sel:[0,1]
	v_pk_mul_f32 v[62:63], v[26:27], v[18:19] op_sel:[0,1]
	s_waitcnt vmcnt(0)
	v_pk_mul_f32 v[64:65], v[28:29], v[32:33] op_sel:[0,1]
	v_pk_mul_f32 v[66:67], v[30:31], v[40:41] op_sel:[0,1]
	v_pk_fma_f32 v[10:11], v[10:11], v[44:45], v[52:53] op_sel:[0,0,1] op_sel_hi:[1,0,0]
	v_pk_mul_f32 v[44:45], v[46:47], v[54:55] op_sel_hi:[1,0]
	v_pk_fma_f32 v[54:55], v[24:25], v[2:3], v[60:61] op_sel:[0,0,1] op_sel_hi:[1,1,0] neg_lo:[0,0,1] neg_hi:[0,0,1]
	v_pk_fma_f32 v[2:3], v[24:25], v[2:3], v[60:61] op_sel:[0,0,1] op_sel_hi:[1,0,0]
	v_pk_fma_f32 v[24:25], v[26:27], v[18:19], v[62:63] op_sel:[0,0,1] op_sel_hi:[1,1,0] neg_lo:[0,0,1] neg_hi:[0,0,1]
	v_pk_fma_f32 v[18:19], v[26:27], v[18:19], v[62:63] op_sel:[0,0,1] op_sel_hi:[1,0,0]
	;; [unrolled: 2-line block ×4, first 2 shown]
	v_mov_b32_e32 v58, v9
	v_mov_b32_e32 v69, v11
	v_pk_fma_f32 v[10:11], v[46:47], v[12:13], v[44:45] op_sel:[0,0,1] op_sel_hi:[1,1,0] neg_lo:[0,0,1] neg_hi:[0,0,1]
	v_pk_fma_f32 v[12:13], v[46:47], v[12:13], v[44:45] op_sel:[0,0,1] op_sel_hi:[1,0,0]
	v_mov_b32_e32 v55, v3
	v_mov_b32_e32 v25, v19
	v_mov_b32_e32 v27, v29
	v_mov_b32_e32 v33, v31
	v_pk_fma_f32 v[52:53], v[34:35], v[6:7], v[56:57] op_sel:[0,0,1] op_sel_hi:[1,1,0] neg_lo:[0,0,1] neg_hi:[0,0,1]
	v_pk_fma_f32 v[6:7], v[34:35], v[6:7], v[56:57] op_sel:[0,0,1] op_sel_hi:[1,0,0]
	v_pk_mul_f32 v[34:35], v[42:43], v[58:59] op_sel_hi:[1,0]
	v_mov_b32_e32 v11, v13
	v_pk_add_f32 v[12:13], v[24:25], v[26:27]
	v_pk_add_f32 v[18:19], v[54:55], v[32:33] neg_lo:[0,1] neg_hi:[0,1]
	v_mov_b32_e32 v53, v7
	v_pk_fma_f32 v[6:7], v[42:43], v[8:9], v[34:35] op_sel:[0,0,1] op_sel_hi:[1,1,0] neg_lo:[0,0,1] neg_hi:[0,0,1]
	v_pk_fma_f32 v[8:9], v[42:43], v[8:9], v[34:35] op_sel:[0,0,1] op_sel_hi:[1,0,0]
	v_pk_add_f32 v[28:29], v[24:25], v[26:27] neg_lo:[0,1] neg_hi:[0,1]
	v_pk_add_f32 v[30:31], v[54:55], v[24:25] neg_lo:[0,1] neg_hi:[0,1]
	v_pk_fma_f32 v[12:13], v[12:13], 0.5, v[50:51] op_sel_hi:[1,0,1] neg_lo:[1,0,0] neg_hi:[1,0,0]
	v_pk_mul_f32 v[34:35], v[18:19], s[0:1] op_sel_hi:[1,0]
	v_pk_add_f32 v[42:43], v[32:33], v[26:27] neg_lo:[0,1] neg_hi:[0,1]
	v_mov_b32_e32 v7, v9
	v_pk_add_f32 v[8:9], v[50:51], v[54:55]
	v_pk_mul_f32 v[40:41], v[28:29], s[4:5] op_sel_hi:[1,0]
	v_pk_add_f32 v[30:31], v[30:31], v[42:43]
	v_pk_add_f32 v[42:43], v[12:13], v[34:35] op_sel:[0,1] op_sel_hi:[1,0]
	v_pk_add_f32 v[12:13], v[12:13], v[34:35] op_sel:[0,1] op_sel_hi:[1,0] neg_lo:[0,1] neg_hi:[0,1]
	v_pk_add_f32 v[8:9], v[8:9], v[24:25]
	v_pk_add_f32 v[12:13], v[12:13], v[40:41] op_sel:[0,1] op_sel_hi:[1,0] neg_lo:[0,1] neg_hi:[0,1]
	v_pk_add_f32 v[34:35], v[42:43], v[40:41] op_sel:[0,1] op_sel_hi:[1,0]
	v_pk_add_f32 v[8:9], v[8:9], v[26:27]
	v_mov_b32_e32 v40, v34
	v_mov_b32_e32 v41, v13
	v_pk_add_f32 v[8:9], v[8:9], v[32:33]
	v_pk_fma_f32 v[40:41], v[30:31], s[10:11], v[40:41] op_sel_hi:[1,0,1]
	ds_write2_b64 v5, v[8:9], v[40:41] offset1:44
	v_pk_add_f32 v[8:9], v[54:55], v[32:33]
	v_pk_add_f32 v[24:25], v[24:25], v[54:55] neg_lo:[0,1] neg_hi:[0,1]
	v_pk_add_f32 v[26:27], v[26:27], v[32:33] neg_lo:[0,1] neg_hi:[0,1]
	v_pk_fma_f32 v[8:9], v[8:9], 0.5, v[50:51] op_sel_hi:[1,0,1] neg_lo:[1,0,0] neg_hi:[1,0,0]
	v_pk_add_f32 v[24:25], v[24:25], v[26:27]
	v_pk_mul_f32 v[26:27], v[28:29], s[0:1] op_sel_hi:[1,0]
	v_pk_mul_f32 v[18:19], v[18:19], s[4:5] op_sel_hi:[1,0]
	v_pk_add_f32 v[28:29], v[8:9], v[26:27] op_sel:[0,1] op_sel_hi:[1,0] neg_lo:[0,1] neg_hi:[0,1]
	v_pk_add_f32 v[8:9], v[8:9], v[26:27] op_sel:[0,1] op_sel_hi:[1,0]
	v_mov_b32_e32 v13, v35
	v_pk_add_f32 v[8:9], v[8:9], v[18:19] op_sel:[0,1] op_sel_hi:[1,0] neg_lo:[0,1] neg_hi:[0,1]
	v_pk_add_f32 v[18:19], v[28:29], v[18:19] op_sel:[0,1] op_sel_hi:[1,0]
	v_mov_b32_e32 v27, v9
	v_mov_b32_e32 v26, v18
	;; [unrolled: 1-line block ×3, first 2 shown]
	v_pk_fma_f32 v[26:27], v[24:25], s[10:11], v[26:27] op_sel_hi:[1,0,1]
	v_pk_fma_f32 v[8:9], v[24:25], s[10:11], v[8:9] op_sel_hi:[1,0,1]
	ds_write2_b64 v5, v[26:27], v[8:9] offset0:88 offset1:132
	v_pk_fma_f32 v[8:9], v[30:31], s[10:11], v[12:13] op_sel_hi:[1,0,1]
	ds_write_b64 v5, v[8:9] offset:1408
	v_pk_add_f32 v[8:9], v[10:11], v[52:53]
	v_pk_add_f32 v[12:13], v[68:69], v[6:7] neg_lo:[0,1] neg_hi:[0,1]
	v_pk_fma_f32 v[8:9], v[8:9], 0.5, v[48:49] op_sel_hi:[1,0,1] neg_lo:[1,0,0] neg_hi:[1,0,0]
	v_pk_mul_f32 v[18:19], v[12:13], s[0:1] op_sel_hi:[1,0]
	v_pk_add_f32 v[24:25], v[10:11], v[52:53] neg_lo:[0,1] neg_hi:[0,1]
	v_pk_add_f32 v[28:29], v[68:69], v[10:11] neg_lo:[0,1] neg_hi:[0,1]
	;; [unrolled: 1-line block ×3, first 2 shown]
	v_pk_add_f32 v[2:3], v[48:49], v[68:69]
	v_pk_mul_f32 v[26:27], v[24:25], s[4:5] op_sel_hi:[1,0]
	v_pk_add_f32 v[28:29], v[28:29], v[30:31]
	v_pk_add_f32 v[30:31], v[8:9], v[18:19] op_sel:[0,1] op_sel_hi:[1,0]
	v_pk_add_f32 v[8:9], v[8:9], v[18:19] op_sel:[0,1] op_sel_hi:[1,0] neg_lo:[0,1] neg_hi:[0,1]
	v_pk_add_f32 v[2:3], v[2:3], v[10:11]
	v_pk_add_f32 v[8:9], v[8:9], v[26:27] op_sel:[0,1] op_sel_hi:[1,0] neg_lo:[0,1] neg_hi:[0,1]
	v_pk_add_f32 v[18:19], v[30:31], v[26:27] op_sel:[0,1] op_sel_hi:[1,0]
	v_pk_add_f32 v[2:3], v[2:3], v[52:53]
	v_mov_b32_e32 v26, v18
	v_mov_b32_e32 v27, v9
	v_pk_add_f32 v[2:3], v[2:3], v[6:7]
	v_pk_fma_f32 v[26:27], v[28:29], s[10:11], v[26:27] op_sel_hi:[1,0,1]
	ds_write2_b64 v17, v[2:3], v[26:27] offset1:44
	v_pk_add_f32 v[2:3], v[68:69], v[6:7]
	v_pk_add_f32 v[10:11], v[10:11], v[68:69] neg_lo:[0,1] neg_hi:[0,1]
	v_pk_add_f32 v[6:7], v[52:53], v[6:7] neg_lo:[0,1] neg_hi:[0,1]
	v_pk_fma_f32 v[2:3], v[2:3], 0.5, v[48:49] op_sel_hi:[1,0,1] neg_lo:[1,0,0] neg_hi:[1,0,0]
	v_pk_add_f32 v[6:7], v[10:11], v[6:7]
	v_pk_mul_f32 v[10:11], v[24:25], s[0:1] op_sel_hi:[1,0]
	v_pk_mul_f32 v[12:13], v[12:13], s[4:5] op_sel_hi:[1,0]
	v_pk_add_f32 v[24:25], v[2:3], v[10:11] op_sel:[0,1] op_sel_hi:[1,0] neg_lo:[0,1] neg_hi:[0,1]
	v_pk_add_f32 v[2:3], v[2:3], v[10:11] op_sel:[0,1] op_sel_hi:[1,0]
	v_pk_add_f32 v[10:11], v[24:25], v[12:13] op_sel:[0,1] op_sel_hi:[1,0]
	v_pk_add_f32 v[2:3], v[2:3], v[12:13] op_sel:[0,1] op_sel_hi:[1,0] neg_lo:[0,1] neg_hi:[0,1]
	v_mov_b32_e32 v12, v10
	v_mov_b32_e32 v13, v3
	;; [unrolled: 1-line block ×3, first 2 shown]
	v_pk_fma_f32 v[12:13], v[6:7], s[10:11], v[12:13] op_sel_hi:[1,0,1]
	v_pk_fma_f32 v[2:3], v[6:7], s[10:11], v[2:3] op_sel_hi:[1,0,1]
	v_mov_b32_e32 v9, v19
	ds_write2_b64 v17, v[12:13], v[2:3] offset0:88 offset1:132
	v_pk_fma_f32 v[2:3], v[28:29], s[10:11], v[8:9] op_sel_hi:[1,0,1]
	ds_write_b64 v17, v[2:3] offset:1408
	s_waitcnt lgkmcnt(0)
	s_barrier
	s_and_saveexec_b64 s[12:13], vcc
	s_cbranch_execz .LBB0_19
; %bb.18:
	v_lshlrev_b32_e32 v2, 2, v37
	v_mov_b32_e32 v3, 0
	v_lshl_add_u64 v[12:13], v[2:3], 3, s[8:9]
	v_lshlrev_b32_e32 v2, 2, v36
	v_lshl_add_u64 v[2:3], v[2:3], 3, s[8:9]
	global_load_dwordx4 v[24:27], v[2:3], off offset:1744
	global_load_dwordx4 v[28:31], v[2:3], off offset:1760
	v_mul_lo_u32 v37, s3, v22
	v_mul_lo_u32 v39, s2, v23
	v_mad_u64_u32 v[18:19], s[2:3], s2, v22, 0
	v_lshrrev_b32_e32 v40, 2, v36
	s_mov_b32 s2, 0x94f2095
	ds_read2_b64 v[8:11], v1 offset0:10 offset1:230
	ds_read2_b64 v[0:3], v0 offset0:20 offset1:130
	;; [unrolled: 1-line block ×3, first 2 shown]
	ds_read_b64 v[22:23], v38
	ds_read_b64 v[32:33], v15
	ds_read_b64 v[16:17], v16
	ds_read_b64 v[34:35], v14
	v_mul_hi_u32 v14, v40, s2
	s_movk_i32 s1, 0xdc
	v_add3_u32 v19, v19, v39, v37
	v_lshrrev_b32_e32 v37, 1, v14
	v_lshl_add_u64 v[14:15], v[18:19], 3, s[6:7]
	v_mul_lo_u32 v18, v37, s1
	v_sub_u32_e32 v19, v36, v18
	v_lshl_add_u64 v[38:39], v[20:21], 3, v[14:15]
	v_mad_u64_u32 v[14:15], s[6:7], s16, v19, 0
	v_add_u32_e32 v37, 0xdc, v19
	v_add_u32_e32 v47, 0x1b8, v19
	;; [unrolled: 1-line block ×3, first 2 shown]
	v_mov_b32_e32 v18, v15
	v_mad_u64_u32 v[20:21], s[6:7], s16, v37, 0
	v_add_u32_e32 v51, 0x370, v19
	v_mad_u64_u32 v[40:41], s[6:7], s16, v47, 0
	v_mad_u64_u32 v[42:43], s[6:7], s16, v49, 0
	;; [unrolled: 1-line block ×3, first 2 shown]
	v_mov_b32_e32 v46, v21
	v_mad_u64_u32 v[44:45], s[6:7], s16, v51, 0
	v_mov_b32_e32 v48, v41
	v_mov_b32_e32 v50, v43
	;; [unrolled: 1-line block ×3, first 2 shown]
	v_mad_u64_u32 v[18:19], s[6:7], s17, v37, v[46:47]
	v_mov_b32_e32 v52, v45
	v_mad_u64_u32 v[46:47], s[6:7], s17, v47, v[48:49]
	v_mad_u64_u32 v[48:49], s[6:7], s17, v49, v[50:51]
	v_mov_b32_e32 v21, v18
	v_mad_u64_u32 v[50:51], s[6:7], s17, v51, v[52:53]
	v_lshl_add_u64 v[52:53], v[14:15], 3, v[38:39]
	v_mov_b32_e32 v41, v46
	v_mov_b32_e32 v43, v48
	v_lshl_add_u64 v[46:47], v[20:21], 3, v[38:39]
	v_mov_b32_e32 v45, v50
	v_lshl_add_u64 v[40:41], v[40:41], 3, v[38:39]
	v_lshl_add_u64 v[42:43], v[42:43], 3, v[38:39]
	;; [unrolled: 1-line block ×3, first 2 shown]
	s_waitcnt vmcnt(1) lgkmcnt(1)
	v_pk_mul_f32 v[14:15], v[26:27], v[16:17] op_sel:[0,1]
	s_waitcnt vmcnt(0)
	v_pk_mul_f32 v[18:19], v[28:29], v[0:1] op_sel:[0,1]
	v_pk_mul_f32 v[20:21], v[24:25], v[32:33] op_sel:[0,1]
	;; [unrolled: 1-line block ×3, first 2 shown]
	v_pk_fma_f32 v[50:51], v[26:27], v[16:17], v[14:15] op_sel:[0,0,1] op_sel_hi:[1,1,0] neg_lo:[0,0,1] neg_hi:[0,0,1]
	v_pk_fma_f32 v[14:15], v[26:27], v[16:17], v[14:15] op_sel:[0,0,1] op_sel_hi:[1,0,0]
	v_pk_fma_f32 v[26:27], v[28:29], v[0:1], v[18:19] op_sel:[0,0,1] op_sel_hi:[1,1,0] neg_lo:[0,0,1] neg_hi:[0,0,1]
	v_pk_fma_f32 v[0:1], v[28:29], v[0:1], v[18:19] op_sel:[0,0,1] op_sel_hi:[1,0,0]
	;; [unrolled: 2-line block ×4, first 2 shown]
	v_mov_b32_e32 v51, v15
	v_mov_b32_e32 v27, v1
	;; [unrolled: 1-line block ×4, first 2 shown]
	v_pk_add_f32 v[0:1], v[28:29], v[50:51] neg_lo:[0,1] neg_hi:[0,1]
	v_pk_add_f32 v[4:5], v[24:25], v[26:27] neg_lo:[0,1] neg_hi:[0,1]
	v_pk_add_f32 v[14:15], v[50:51], v[26:27]
	v_pk_add_f32 v[0:1], v[0:1], v[4:5]
	v_pk_fma_f32 v[4:5], v[14:15], 0.5, v[22:23] op_sel_hi:[1,0,1] neg_lo:[1,0,0] neg_hi:[1,0,0]
	global_load_dwordx4 v[14:17], v[12:13], off offset:1760
	global_load_dwordx4 v[18:21], v[12:13], off offset:1744
	v_pk_add_f32 v[30:31], v[28:29], v[24:25] neg_lo:[0,1] neg_hi:[0,1]
	v_pk_add_f32 v[12:13], v[50:51], v[26:27] neg_lo:[0,1] neg_hi:[0,1]
	v_pk_fma_f32 v[32:33], v[30:31], s[0:1], v[4:5] op_sel:[1,0,0] op_sel_hi:[0,0,1] neg_lo:[1,0,0] neg_hi:[1,0,0]
	v_pk_fma_f32 v[4:5], v[30:31], s[0:1], v[4:5] op_sel:[1,0,0] op_sel_hi:[0,0,1]
	v_pk_add_f32 v[54:55], v[28:29], v[22:23]
	v_pk_fma_f32 v[4:5], v[12:13], s[4:5], v[4:5] op_sel:[1,0,0] op_sel_hi:[0,0,1]
	v_pk_fma_f32 v[32:33], v[12:13], s[4:5], v[32:33] op_sel:[1,0,0] op_sel_hi:[0,0,1] neg_lo:[1,0,0] neg_hi:[1,0,0]
	v_pk_add_f32 v[54:55], v[50:51], v[54:55]
	v_mov_b32_e32 v48, v32
	v_mov_b32_e32 v49, v5
	v_pk_add_f32 v[54:55], v[54:55], v[26:27]
	v_mov_b32_e32 v5, v33
	v_pk_fma_f32 v[48:49], v[0:1], s[10:11], v[48:49] op_sel_hi:[1,0,1]
	v_pk_add_f32 v[54:55], v[24:25], v[54:55]
	v_pk_fma_f32 v[0:1], v[0:1], s[10:11], v[4:5] op_sel_hi:[1,0,1]
	global_store_dwordx2 v[52:53], v[54:55], off
	global_store_dwordx2 v[46:47], v[0:1], off
	v_pk_add_f32 v[0:1], v[50:51], v[28:29] neg_lo:[0,1] neg_hi:[0,1]
	v_pk_add_f32 v[4:5], v[26:27], v[24:25] neg_lo:[0,1] neg_hi:[0,1]
	s_nop 0
	v_pk_add_f32 v[0:1], v[0:1], v[4:5]
	v_pk_add_f32 v[4:5], v[28:29], v[24:25]
	s_nop 0
	v_pk_fma_f32 v[4:5], v[4:5], 0.5, v[22:23] op_sel_hi:[1,0,1] neg_lo:[1,0,0] neg_hi:[1,0,0]
	s_nop 0
	v_pk_fma_f32 v[22:23], v[12:13], s[0:1], v[4:5] op_sel:[1,0,0] op_sel_hi:[0,0,1]
	v_pk_fma_f32 v[4:5], v[12:13], s[0:1], v[4:5] op_sel:[1,0,0] op_sel_hi:[0,0,1] neg_lo:[1,0,0] neg_hi:[1,0,0]
	v_pk_fma_f32 v[4:5], v[30:31], s[4:5], v[4:5] op_sel:[1,0,0] op_sel_hi:[0,0,1]
	v_pk_fma_f32 v[12:13], v[30:31], s[4:5], v[22:23] op_sel:[1,0,0] op_sel_hi:[0,0,1] neg_lo:[1,0,0] neg_hi:[1,0,0]
	v_mov_b32_e32 v22, v12
	v_mov_b32_e32 v23, v5
	;; [unrolled: 1-line block ×3, first 2 shown]
	v_pk_fma_f32 v[22:23], v[0:1], s[10:11], v[22:23] op_sel_hi:[1,0,1]
	v_pk_fma_f32 v[0:1], v[0:1], s[10:11], v[4:5] op_sel_hi:[1,0,1]
	global_store_dwordx2 v[40:41], v[0:1], off
	global_store_dwordx2 v[42:43], v[22:23], off
	;; [unrolled: 1-line block ×3, first 2 shown]
	v_add_u32_e32 v0, 0x6e, v36
	v_lshrrev_b32_e32 v1, 2, v0
	v_mul_hi_u32 v1, v1, s2
	v_lshrrev_b32_e32 v1, 1, v1
	v_mul_lo_u32 v4, v1, s1
	v_sub_u32_e32 v0, v0, v4
	s_movk_i32 s1, 0x44c
	v_mad_u64_u32 v[0:1], s[2:3], v1, s1, v[0:1]
	v_mad_u64_u32 v[4:5], s[2:3], s16, v0, 0
	v_mov_b32_e32 v12, v5
	v_mad_u64_u32 v[12:13], s[2:3], s17, v0, v[12:13]
	v_add_u32_e32 v1, 0xdc, v0
	v_mov_b32_e32 v5, v12
	v_mad_u64_u32 v[12:13], s[2:3], s16, v1, 0
	v_mov_b32_e32 v22, v13
	v_mad_u64_u32 v[22:23], s[2:3], s17, v1, v[22:23]
	v_add_u32_e32 v1, 0x1b8, v0
	v_mov_b32_e32 v13, v22
	;; [unrolled: 5-line block ×3, first 2 shown]
	v_mad_u64_u32 v[24:25], s[2:3], s16, v1, 0
	v_mov_b32_e32 v26, v25
	v_mad_u64_u32 v[26:27], s[2:3], s17, v1, v[26:27]
	v_add_u32_e32 v27, 0x370, v0
	v_mad_u64_u32 v[0:1], s[2:3], s16, v27, 0
	v_mov_b32_e32 v25, v26
	v_mov_b32_e32 v26, v1
	v_mad_u64_u32 v[26:27], s[2:3], s17, v27, v[26:27]
	v_mov_b32_e32 v1, v26
	v_lshl_add_u64 v[4:5], v[4:5], 3, v[38:39]
	s_waitcnt vmcnt(5)
	v_pk_mul_f32 v[26:27], v[18:19], v[8:9] op_sel:[0,1]
	v_lshl_add_u64 v[12:13], v[12:13], 3, v[38:39]
	v_pk_fma_f32 v[28:29], v[18:19], v[8:9], v[26:27] op_sel:[0,0,1] op_sel_hi:[1,1,0] neg_lo:[0,0,1] neg_hi:[0,0,1]
	v_pk_fma_f32 v[8:9], v[18:19], v[8:9], v[26:27] op_sel:[0,0,1] op_sel_hi:[1,0,0]
	v_lshl_add_u64 v[22:23], v[22:23], 3, v[38:39]
	v_mov_b32_e32 v29, v9
	v_pk_mul_f32 v[8:9], v[20:21], v[10:11] op_sel:[0,1]
	s_waitcnt lgkmcnt(0)
	v_pk_add_f32 v[30:31], v[28:29], v[34:35]
	v_pk_fma_f32 v[18:19], v[20:21], v[10:11], v[8:9] op_sel:[0,0,1] op_sel_hi:[1,1,0] neg_lo:[0,0,1] neg_hi:[0,0,1]
	v_pk_fma_f32 v[8:9], v[20:21], v[10:11], v[8:9] op_sel:[0,0,1] op_sel_hi:[1,0,0]
	v_lshl_add_u64 v[24:25], v[24:25], 3, v[38:39]
	v_mov_b32_e32 v19, v9
	v_pk_mul_f32 v[8:9], v[16:17], v[6:7] op_sel:[0,1]
	v_pk_add_f32 v[30:31], v[18:19], v[30:31]
	v_pk_fma_f32 v[10:11], v[16:17], v[6:7], v[8:9] op_sel:[0,0,1] op_sel_hi:[1,1,0] neg_lo:[0,0,1] neg_hi:[0,0,1]
	v_pk_fma_f32 v[6:7], v[16:17], v[6:7], v[8:9] op_sel:[0,0,1] op_sel_hi:[1,0,0]
	v_pk_add_f32 v[16:17], v[28:29], v[18:19] neg_lo:[0,1] neg_hi:[0,1]
	v_mov_b32_e32 v11, v7
	v_pk_mul_f32 v[6:7], v[14:15], v[2:3] op_sel:[0,1]
	v_lshl_add_u64 v[0:1], v[0:1], 3, v[38:39]
	v_pk_fma_f32 v[8:9], v[14:15], v[2:3], v[6:7] op_sel:[0,0,1] op_sel_hi:[1,1,0] neg_lo:[0,0,1] neg_hi:[0,0,1]
	v_pk_fma_f32 v[2:3], v[14:15], v[2:3], v[6:7] op_sel:[0,0,1] op_sel_hi:[1,0,0]
	s_nop 0
	v_mov_b32_e32 v9, v3
	v_pk_add_f32 v[14:15], v[18:19], v[8:9]
	v_pk_add_f32 v[2:3], v[28:29], v[10:11] neg_lo:[0,1] neg_hi:[0,1]
	v_pk_fma_f32 v[14:15], v[14:15], 0.5, v[34:35] op_sel_hi:[1,0,1] neg_lo:[1,0,0] neg_hi:[1,0,0]
	v_pk_add_f32 v[20:21], v[10:11], v[8:9] neg_lo:[0,1] neg_hi:[0,1]
	v_pk_add_f32 v[6:7], v[18:19], v[8:9] neg_lo:[0,1] neg_hi:[0,1]
	v_pk_add_f32 v[16:17], v[16:17], v[20:21]
	v_pk_fma_f32 v[20:21], v[2:3], s[0:1], v[14:15] op_sel:[1,0,0] op_sel_hi:[0,0,1] neg_lo:[1,0,0] neg_hi:[1,0,0]
	v_pk_fma_f32 v[14:15], v[2:3], s[0:1], v[14:15] op_sel:[1,0,0] op_sel_hi:[0,0,1]
	v_pk_fma_f32 v[14:15], v[6:7], s[4:5], v[14:15] op_sel:[1,0,0] op_sel_hi:[0,0,1]
	v_pk_fma_f32 v[20:21], v[6:7], s[4:5], v[20:21] op_sel:[1,0,0] op_sel_hi:[0,0,1] neg_lo:[1,0,0] neg_hi:[1,0,0]
	v_pk_add_f32 v[30:31], v[8:9], v[30:31]
	v_mov_b32_e32 v27, v15
	v_pk_add_f32 v[30:31], v[10:11], v[30:31]
	v_mov_b32_e32 v15, v21
	global_store_dwordx2 v[4:5], v[30:31], off
	v_pk_fma_f32 v[4:5], v[16:17], s[10:11], v[14:15] op_sel_hi:[1,0,1]
	global_store_dwordx2 v[12:13], v[4:5], off
	v_pk_add_f32 v[4:5], v[18:19], v[28:29] neg_lo:[0,1] neg_hi:[0,1]
	v_pk_add_f32 v[8:9], v[8:9], v[10:11] neg_lo:[0,1] neg_hi:[0,1]
	v_mov_b32_e32 v26, v20
	v_pk_add_f32 v[4:5], v[4:5], v[8:9]
	v_pk_add_f32 v[8:9], v[28:29], v[10:11]
	v_pk_fma_f32 v[26:27], v[16:17], s[10:11], v[26:27] op_sel_hi:[1,0,1]
	v_pk_fma_f32 v[8:9], v[8:9], 0.5, v[34:35] op_sel_hi:[1,0,1] neg_lo:[1,0,0] neg_hi:[1,0,0]
	s_nop 0
	v_pk_fma_f32 v[10:11], v[6:7], s[0:1], v[8:9] op_sel:[1,0,0] op_sel_hi:[0,0,1]
	v_pk_fma_f32 v[6:7], v[6:7], s[0:1], v[8:9] op_sel:[1,0,0] op_sel_hi:[0,0,1] neg_lo:[1,0,0] neg_hi:[1,0,0]
	v_pk_fma_f32 v[6:7], v[2:3], s[4:5], v[6:7] op_sel:[1,0,0] op_sel_hi:[0,0,1]
	v_pk_fma_f32 v[2:3], v[2:3], s[4:5], v[10:11] op_sel:[1,0,0] op_sel_hi:[0,0,1] neg_lo:[1,0,0] neg_hi:[1,0,0]
	v_mov_b32_e32 v9, v7
	v_mov_b32_e32 v7, v3
	;; [unrolled: 1-line block ×3, first 2 shown]
	v_pk_fma_f32 v[2:3], v[4:5], s[10:11], v[6:7] op_sel_hi:[1,0,1]
	v_pk_fma_f32 v[8:9], v[4:5], s[10:11], v[8:9] op_sel_hi:[1,0,1]
	global_store_dwordx2 v[22:23], v[2:3], off
	global_store_dwordx2 v[24:25], v[8:9], off
	;; [unrolled: 1-line block ×3, first 2 shown]
.LBB0_19:
	s_endpgm
	.section	.rodata,"a",@progbits
	.p2align	6, 0x0
	.amdhsa_kernel fft_rtc_fwd_len1100_factors_2_2_11_5_5_wgs_110_tpt_110_sp_op_CI_CI_sbrr_dirReg
		.amdhsa_group_segment_fixed_size 0
		.amdhsa_private_segment_fixed_size 0
		.amdhsa_kernarg_size 104
		.amdhsa_user_sgpr_count 2
		.amdhsa_user_sgpr_dispatch_ptr 0
		.amdhsa_user_sgpr_queue_ptr 0
		.amdhsa_user_sgpr_kernarg_segment_ptr 1
		.amdhsa_user_sgpr_dispatch_id 0
		.amdhsa_user_sgpr_kernarg_preload_length 0
		.amdhsa_user_sgpr_kernarg_preload_offset 0
		.amdhsa_user_sgpr_private_segment_size 0
		.amdhsa_uses_dynamic_stack 0
		.amdhsa_enable_private_segment 0
		.amdhsa_system_sgpr_workgroup_id_x 1
		.amdhsa_system_sgpr_workgroup_id_y 0
		.amdhsa_system_sgpr_workgroup_id_z 0
		.amdhsa_system_sgpr_workgroup_info 0
		.amdhsa_system_vgpr_workitem_id 0
		.amdhsa_next_free_vgpr 132
		.amdhsa_next_free_sgpr 44
		.amdhsa_accum_offset 132
		.amdhsa_reserve_vcc 1
		.amdhsa_float_round_mode_32 0
		.amdhsa_float_round_mode_16_64 0
		.amdhsa_float_denorm_mode_32 3
		.amdhsa_float_denorm_mode_16_64 3
		.amdhsa_dx10_clamp 1
		.amdhsa_ieee_mode 1
		.amdhsa_fp16_overflow 0
		.amdhsa_tg_split 0
		.amdhsa_exception_fp_ieee_invalid_op 0
		.amdhsa_exception_fp_denorm_src 0
		.amdhsa_exception_fp_ieee_div_zero 0
		.amdhsa_exception_fp_ieee_overflow 0
		.amdhsa_exception_fp_ieee_underflow 0
		.amdhsa_exception_fp_ieee_inexact 0
		.amdhsa_exception_int_div_zero 0
	.end_amdhsa_kernel
	.text
.Lfunc_end0:
	.size	fft_rtc_fwd_len1100_factors_2_2_11_5_5_wgs_110_tpt_110_sp_op_CI_CI_sbrr_dirReg, .Lfunc_end0-fft_rtc_fwd_len1100_factors_2_2_11_5_5_wgs_110_tpt_110_sp_op_CI_CI_sbrr_dirReg
                                        ; -- End function
	.section	.AMDGPU.csdata,"",@progbits
; Kernel info:
; codeLenInByte = 7724
; NumSgprs: 50
; NumVgprs: 132
; NumAgprs: 0
; TotalNumVgprs: 132
; ScratchSize: 0
; MemoryBound: 0
; FloatMode: 240
; IeeeMode: 1
; LDSByteSize: 0 bytes/workgroup (compile time only)
; SGPRBlocks: 6
; VGPRBlocks: 16
; NumSGPRsForWavesPerEU: 50
; NumVGPRsForWavesPerEU: 132
; AccumOffset: 132
; Occupancy: 3
; WaveLimiterHint : 1
; COMPUTE_PGM_RSRC2:SCRATCH_EN: 0
; COMPUTE_PGM_RSRC2:USER_SGPR: 2
; COMPUTE_PGM_RSRC2:TRAP_HANDLER: 0
; COMPUTE_PGM_RSRC2:TGID_X_EN: 1
; COMPUTE_PGM_RSRC2:TGID_Y_EN: 0
; COMPUTE_PGM_RSRC2:TGID_Z_EN: 0
; COMPUTE_PGM_RSRC2:TIDIG_COMP_CNT: 0
; COMPUTE_PGM_RSRC3_GFX90A:ACCUM_OFFSET: 32
; COMPUTE_PGM_RSRC3_GFX90A:TG_SPLIT: 0
	.text
	.p2alignl 6, 3212836864
	.fill 256, 4, 3212836864
	.type	__hip_cuid_d17a44f187dd04ac,@object ; @__hip_cuid_d17a44f187dd04ac
	.section	.bss,"aw",@nobits
	.globl	__hip_cuid_d17a44f187dd04ac
__hip_cuid_d17a44f187dd04ac:
	.byte	0                               ; 0x0
	.size	__hip_cuid_d17a44f187dd04ac, 1

	.ident	"AMD clang version 19.0.0git (https://github.com/RadeonOpenCompute/llvm-project roc-6.4.0 25133 c7fe45cf4b819c5991fe208aaa96edf142730f1d)"
	.section	".note.GNU-stack","",@progbits
	.addrsig
	.addrsig_sym __hip_cuid_d17a44f187dd04ac
	.amdgpu_metadata
---
amdhsa.kernels:
  - .agpr_count:     0
    .args:
      - .actual_access:  read_only
        .address_space:  global
        .offset:         0
        .size:           8
        .value_kind:     global_buffer
      - .offset:         8
        .size:           8
        .value_kind:     by_value
      - .actual_access:  read_only
        .address_space:  global
        .offset:         16
        .size:           8
        .value_kind:     global_buffer
      - .actual_access:  read_only
        .address_space:  global
        .offset:         24
        .size:           8
        .value_kind:     global_buffer
      - .actual_access:  read_only
        .address_space:  global
        .offset:         32
        .size:           8
        .value_kind:     global_buffer
      - .offset:         40
        .size:           8
        .value_kind:     by_value
      - .actual_access:  read_only
        .address_space:  global
        .offset:         48
        .size:           8
        .value_kind:     global_buffer
      - .actual_access:  read_only
        .address_space:  global
        .offset:         56
        .size:           8
        .value_kind:     global_buffer
      - .offset:         64
        .size:           4
        .value_kind:     by_value
      - .actual_access:  read_only
        .address_space:  global
        .offset:         72
        .size:           8
        .value_kind:     global_buffer
      - .actual_access:  read_only
        .address_space:  global
        .offset:         80
        .size:           8
        .value_kind:     global_buffer
      - .actual_access:  read_only
        .address_space:  global
        .offset:         88
        .size:           8
        .value_kind:     global_buffer
      - .actual_access:  write_only
        .address_space:  global
        .offset:         96
        .size:           8
        .value_kind:     global_buffer
    .group_segment_fixed_size: 0
    .kernarg_segment_align: 8
    .kernarg_segment_size: 104
    .language:       OpenCL C
    .language_version:
      - 2
      - 0
    .max_flat_workgroup_size: 110
    .name:           fft_rtc_fwd_len1100_factors_2_2_11_5_5_wgs_110_tpt_110_sp_op_CI_CI_sbrr_dirReg
    .private_segment_fixed_size: 0
    .sgpr_count:     50
    .sgpr_spill_count: 0
    .symbol:         fft_rtc_fwd_len1100_factors_2_2_11_5_5_wgs_110_tpt_110_sp_op_CI_CI_sbrr_dirReg.kd
    .uniform_work_group_size: 1
    .uses_dynamic_stack: false
    .vgpr_count:     132
    .vgpr_spill_count: 0
    .wavefront_size: 64
amdhsa.target:   amdgcn-amd-amdhsa--gfx950
amdhsa.version:
  - 1
  - 2
...

	.end_amdgpu_metadata
